;; amdgpu-corpus repo=ROCm/rocFFT kind=compiled arch=gfx950 opt=O3
	.text
	.amdgcn_target "amdgcn-amd-amdhsa--gfx950"
	.amdhsa_code_object_version 6
	.protected	fft_rtc_back_len336_factors_8_2_3_7_wgs_252_tpt_42_dim3_dp_op_CI_CI_sbcr_dirReg ; -- Begin function fft_rtc_back_len336_factors_8_2_3_7_wgs_252_tpt_42_dim3_dp_op_CI_CI_sbcr_dirReg
	.globl	fft_rtc_back_len336_factors_8_2_3_7_wgs_252_tpt_42_dim3_dp_op_CI_CI_sbcr_dirReg
	.p2align	8
	.type	fft_rtc_back_len336_factors_8_2_3_7_wgs_252_tpt_42_dim3_dp_op_CI_CI_sbcr_dirReg,@function
fft_rtc_back_len336_factors_8_2_3_7_wgs_252_tpt_42_dim3_dp_op_CI_CI_sbcr_dirReg: ; @fft_rtc_back_len336_factors_8_2_3_7_wgs_252_tpt_42_dim3_dp_op_CI_CI_sbcr_dirReg
; %bb.0:
	s_load_dwordx4 s[4:7], s[0:1], 0x8
	s_mov_b32 s3, 0
	s_waitcnt lgkmcnt(0)
	s_load_dwordx2 s[22:23], s[4:5], 0x8
	s_waitcnt lgkmcnt(0)
	s_add_u32 s8, s22, -1
	s_addc_u32 s9, s23, -1
	s_add_u32 s10, 0, 0xaaa80000
	s_addc_u32 s11, 0, 0xaa
	s_mul_hi_u32 s13, s10, -6
	s_add_i32 s11, s11, 0x2aaaaa00
	s_sub_i32 s13, s13, s10
	s_mul_i32 s16, s11, -6
	s_mul_i32 s12, s10, -6
	s_add_i32 s13, s13, s16
	s_mul_hi_u32 s14, s11, s12
	s_mul_i32 s15, s11, s12
	s_mul_i32 s17, s10, s13
	s_mul_hi_u32 s12, s10, s12
	s_mul_hi_u32 s16, s10, s13
	s_add_u32 s12, s12, s17
	s_addc_u32 s16, 0, s16
	s_add_u32 s12, s12, s15
	s_mul_hi_u32 s17, s11, s13
	s_addc_u32 s12, s16, s14
	s_addc_u32 s14, s17, 0
	s_mul_i32 s13, s11, s13
	s_add_u32 s12, s12, s13
	v_mov_b32_e32 v1, s12
	s_addc_u32 s13, 0, s14
	v_add_co_u32_e32 v1, vcc, s10, v1
	s_cmp_lg_u64 vcc, 0
	s_addc_u32 s10, s11, s13
	v_readfirstlane_b32 s13, v1
	s_mul_i32 s12, s8, s10
	s_mul_hi_u32 s14, s8, s13
	s_mul_hi_u32 s11, s8, s10
	s_add_u32 s12, s14, s12
	s_addc_u32 s11, 0, s11
	s_mul_hi_u32 s15, s9, s13
	s_mul_i32 s13, s9, s13
	s_add_u32 s12, s12, s13
	s_mul_hi_u32 s14, s9, s10
	s_addc_u32 s11, s11, s15
	s_addc_u32 s12, s14, 0
	s_mul_i32 s10, s9, s10
	s_add_u32 s10, s11, s10
	s_addc_u32 s11, 0, s12
	s_add_u32 s12, s10, 1
	s_addc_u32 s13, s11, 0
	s_add_u32 s14, s10, 2
	s_mul_i32 s16, s11, 6
	s_mul_hi_u32 s17, s10, 6
	s_addc_u32 s15, s11, 0
	s_add_i32 s17, s17, s16
	s_mul_i32 s16, s10, 6
	v_mov_b32_e32 v1, s16
	v_sub_co_u32_e32 v1, vcc, s8, v1
	s_cmp_lg_u64 vcc, 0
	s_subb_u32 s8, s9, s17
	v_subrev_co_u32_e32 v2, vcc, 6, v1
	s_cmp_lg_u64 vcc, 0
	s_subb_u32 s9, s8, 0
	v_readfirstlane_b32 s16, v2
	s_cmp_gt_u32 s16, 5
	s_cselect_b32 s16, -1, 0
	s_cmp_eq_u32 s9, 0
	s_cselect_b32 s9, s16, -1
	s_cmp_lg_u32 s9, 0
	s_cselect_b32 s9, s14, s12
	s_cselect_b32 s12, s15, s13
	v_readfirstlane_b32 s13, v1
	s_cmp_gt_u32 s13, 5
	s_cselect_b32 s13, -1, 0
	s_cmp_eq_u32 s8, 0
	s_cselect_b32 s8, s13, -1
	s_cmp_lg_u32 s8, 0
	s_cselect_b32 s8, s9, s10
	s_cselect_b32 s11, s12, s11
	s_add_u32 s8, s8, 1
	s_addc_u32 s9, s11, 0
	v_mov_b64_e32 v[2:3], s[8:9]
	v_cmp_lt_u64_e32 vcc, s[2:3], v[2:3]
	s_mov_b64 s[10:11], 0
	s_cbranch_vccnz .LBB0_2
; %bb.1:
	v_cvt_f32_u32_e32 v1, s8
	s_sub_i32 s10, 0, s8
	v_rcp_iflag_f32_e32 v1, v1
	s_nop 0
	v_mul_f32_e32 v1, 0x4f7ffffe, v1
	v_cvt_u32_f32_e32 v1, v1
	s_nop 0
	v_readfirstlane_b32 s11, v1
	s_mul_i32 s10, s10, s11
	s_mul_hi_u32 s10, s11, s10
	s_add_i32 s11, s11, s10
	s_mul_hi_u32 s10, s2, s11
	s_mul_i32 s12, s10, s8
	s_sub_i32 s12, s2, s12
	s_add_i32 s11, s10, 1
	s_sub_i32 s13, s12, s8
	s_cmp_ge_u32 s12, s8
	s_cselect_b32 s10, s11, s10
	s_cselect_b32 s12, s13, s12
	s_add_i32 s11, s10, 1
	s_cmp_ge_u32 s12, s8
	s_cselect_b32 s10, s11, s10
	s_mov_b32 s11, s3
.LBB0_2:
	s_load_dwordx2 s[14:15], s[4:5], 0x10
	s_load_dwordx2 s[26:27], s[6:7], 0x8
	s_mov_b64 s[12:13], s[10:11]
	s_waitcnt lgkmcnt(0)
	v_mov_b64_e32 v[2:3], s[14:15]
	v_cmp_lt_u64_e32 vcc, s[10:11], v[2:3]
	s_cbranch_vccnz .LBB0_4
; %bb.3:
	v_cvt_f32_u32_e32 v1, s14
	s_sub_i32 s4, 0, s14
	v_rcp_iflag_f32_e32 v1, v1
	s_nop 0
	v_mul_f32_e32 v1, 0x4f7ffffe, v1
	v_cvt_u32_f32_e32 v1, v1
	s_nop 0
	v_readfirstlane_b32 s5, v1
	s_mul_i32 s4, s4, s5
	s_mul_hi_u32 s4, s5, s4
	s_add_i32 s5, s5, s4
	s_mul_hi_u32 s4, s10, s5
	s_mul_i32 s4, s4, s14
	s_sub_i32 s4, s10, s4
	s_sub_i32 s5, s4, s14
	s_cmp_ge_u32 s4, s14
	s_cselect_b32 s4, s5, s4
	s_sub_i32 s5, s4, s14
	s_cmp_ge_u32 s4, s14
	s_cselect_b32 s12, s5, s4
.LBB0_4:
	s_mul_i32 s11, s14, s9
	s_mul_hi_u32 s13, s14, s8
	s_load_dwordx2 s[4:5], s[0:1], 0x18
	s_load_dwordx2 s[28:29], s[0:1], 0x50
	s_add_i32 s11, s13, s11
	s_mul_i32 s13, s15, s8
	s_load_dwordx2 s[24:25], s[6:7], 0x0
	s_load_dwordx2 s[20:21], s[6:7], 0x10
	s_add_i32 s17, s11, s13
	s_mul_i32 s16, s14, s8
	v_mov_b64_e32 v[2:3], s[16:17]
	v_cmp_lt_u64_e32 vcc, s[2:3], v[2:3]
	s_mov_b64 s[14:15], 0
	s_cbranch_vccnz .LBB0_6
; %bb.5:
	v_cvt_f32_u32_e32 v1, s16
	s_sub_i32 s3, 0, s16
	v_rcp_iflag_f32_e32 v1, v1
	s_nop 0
	v_mul_f32_e32 v1, 0x4f7ffffe, v1
	v_cvt_u32_f32_e32 v1, v1
	s_nop 0
	v_readfirstlane_b32 s11, v1
	s_mul_i32 s3, s3, s11
	s_mul_hi_u32 s3, s11, s3
	s_add_i32 s11, s11, s3
	s_mul_hi_u32 s3, s2, s11
	s_mul_i32 s13, s3, s16
	s_sub_i32 s13, s2, s13
	s_add_i32 s11, s3, 1
	s_sub_i32 s14, s13, s16
	s_cmp_ge_u32 s13, s16
	s_cselect_b32 s3, s11, s3
	s_cselect_b32 s13, s14, s13
	s_add_i32 s11, s3, 1
	s_cmp_ge_u32 s13, s16
	s_cselect_b32 s14, s11, s3
.LBB0_6:
	s_mul_i32 s3, s10, s9
	s_mul_hi_u32 s9, s10, s8
	s_add_i32 s9, s9, s3
	s_mul_i32 s3, s10, s8
	s_sub_u32 s2, s2, s3
	s_subb_u32 s3, 0, s9
	s_mul_i32 s3, s3, 6
	s_mul_hi_u32 s8, s2, 6
	s_add_i32 s17, s8, s3
	s_mul_i32 s16, s2, 6
	s_mul_i32 s2, s26, s17
	s_mul_hi_u32 s3, s26, s16
	s_add_i32 s2, s3, s2
	s_mul_i32 s3, s27, s16
	s_add_i32 s8, s2, s3
	s_load_dwordx2 s[2:3], s[6:7], 0x18
	s_waitcnt lgkmcnt(0)
	s_mul_i32 s10, s21, s12
	s_mul_hi_u32 s11, s20, s12
	s_mul_i32 s9, s26, s16
	s_add_i32 s11, s11, s10
	s_mul_i32 s6, s20, s12
	s_add_u32 s6, s6, s9
	s_addc_u32 s7, s11, s8
	s_mul_i32 s3, s3, s14
	s_mul_hi_u32 s8, s2, s14
	s_add_i32 s8, s8, s3
	s_mul_i32 s2, s2, s14
	s_add_u32 s2, s2, s6
	v_mul_u32_u24_e32 v1, 0x2aab, v0
	s_load_dwordx2 s[18:19], s[0:1], 0x0
	s_addc_u32 s3, s8, s7
	v_lshrrev_b32_e32 v1, 16, v1
	v_mul_lo_u16_e32 v2, 6, v1
	s_add_u32 s20, s16, 6
	v_sub_u16_e32 v34, v0, v2
	s_addc_u32 s21, s17, 0
	v_mov_b64_e32 v[2:3], s[22:23]
	v_cmp_gt_u64_e32 vcc, s[20:21], v[2:3]
	v_mov_b32_e32 v35, 0
	v_add_u32_e32 v37, 42, v1
	s_cbranch_vccnz .LBB0_8
; %bb.7:
	v_mad_u64_u32 v[2:3], s[6:7], s26, v34, 0
	v_mov_b32_e32 v4, v3
	v_mad_u64_u32 v[4:5], s[6:7], s27, v34, v[4:5]
	v_mov_b32_e32 v3, v4
	;; [unrolled: 2-line block ×3, first 2 shown]
	v_mad_u64_u32 v[6:7], s[6:7], s25, v1, v[6:7]
	s_lshl_b64 s[6:7], s[2:3], 4
	s_add_u32 s6, s28, s6
	s_addc_u32 s7, s29, s7
	v_add_u32_e32 v60, 42, v1
	v_mov_b32_e32 v5, v6
	v_lshl_add_u64 v[26:27], v[2:3], 4, s[6:7]
	v_mad_u64_u32 v[2:3], s[6:7], s24, v60, 0
	v_lshl_add_u64 v[10:11], v[4:5], 4, v[26:27]
	v_mov_b32_e32 v4, v3
	v_mad_u64_u32 v[4:5], s[6:7], s25, v60, v[4:5]
	v_mov_b32_e32 v3, v4
	v_add_u32_e32 v42, 0x54, v1
	v_lshl_add_u64 v[12:13], v[2:3], 4, v[26:27]
	global_load_dwordx4 v[2:5], v[10:11], off
	global_load_dwordx4 v[6:9], v[12:13], off
	v_mad_u64_u32 v[10:11], s[6:7], s24, v42, 0
	v_mov_b32_e32 v12, v11
	v_mad_u64_u32 v[12:13], s[6:7], s25, v42, v[12:13]
	v_mov_b32_e32 v11, v12
	v_add_u32_e32 v36, 0x7e, v1
	v_lshl_add_u64 v[18:19], v[10:11], 4, v[26:27]
	v_mad_u64_u32 v[10:11], s[6:7], s24, v36, 0
	v_mov_b32_e32 v12, v11
	v_mad_u64_u32 v[12:13], s[6:7], s25, v36, v[12:13]
	v_mov_b32_e32 v11, v12
	v_lshl_add_u64 v[20:21], v[10:11], 4, v[26:27]
	global_load_dwordx4 v[10:13], v[18:19], off
	global_load_dwordx4 v[14:17], v[20:21], off
	v_add_u32_e32 v21, 0xa8, v1
	v_mad_u64_u32 v[18:19], s[6:7], s24, v21, 0
	v_mov_b32_e32 v20, v19
	v_mad_u64_u32 v[20:21], s[6:7], s25, v21, v[20:21]
	v_mov_b32_e32 v19, v20
	v_add_u32_e32 v21, 0xd2, v1
	v_lshl_add_u64 v[28:29], v[18:19], 4, v[26:27]
	v_mad_u64_u32 v[18:19], s[6:7], s24, v21, 0
	v_mov_b32_e32 v20, v19
	v_mad_u64_u32 v[20:21], s[6:7], s25, v21, v[20:21]
	v_mov_b32_e32 v19, v20
	v_lshl_add_u64 v[30:31], v[18:19], 4, v[26:27]
	global_load_dwordx4 v[22:25], v[28:29], off
	global_load_dwordx4 v[18:21], v[30:31], off
	v_add_u32_e32 v31, 0xfc, v1
	v_mad_u64_u32 v[28:29], s[6:7], s24, v31, 0
	v_mov_b32_e32 v30, v29
	v_mad_u64_u32 v[30:31], s[6:7], s25, v31, v[30:31]
	v_mov_b32_e32 v29, v30
	v_add_u32_e32 v31, 0x126, v1
	v_lshl_add_u64 v[38:39], v[28:29], 4, v[26:27]
	v_mad_u64_u32 v[28:29], s[6:7], s24, v31, 0
	v_mov_b32_e32 v30, v29
	v_mad_u64_u32 v[30:31], s[6:7], s25, v31, v[30:31]
	v_mov_b32_e32 v29, v30
	v_lshl_add_u64 v[40:41], v[28:29], 4, v[26:27]
	global_load_dwordx4 v[30:33], v[38:39], off
	global_load_dwordx4 v[26:29], v[40:41], off
	s_load_dwordx8 s[4:11], s[4:5], 0x0
	s_cbranch_execz .LBB0_9
	s_branch .LBB0_14
.LBB0_8:
                                        ; implicit-def: $vgpr2_vgpr3
                                        ; implicit-def: $vgpr10_vgpr11
                                        ; implicit-def: $vgpr18_vgpr19
                                        ; implicit-def: $vgpr26_vgpr27
                                        ; implicit-def: $vgpr30_vgpr31
                                        ; implicit-def: $vgpr22_vgpr23
                                        ; implicit-def: $vgpr14_vgpr15
                                        ; implicit-def: $vgpr6_vgpr7
                                        ; implicit-def: $vgpr60
                                        ; implicit-def: $vgpr42
                                        ; implicit-def: $vgpr36
	s_load_dwordx8 s[4:11], s[4:5], 0x0
.LBB0_9:
	s_waitcnt vmcnt(7)
	v_lshl_add_u64 v[2:3], s[16:17], 0, v[34:35]
	v_cmp_le_u64_e32 vcc, s[22:23], v[2:3]
                                        ; implicit-def: $vgpr60
                                        ; implicit-def: $vgpr42
                                        ; implicit-def: $vgpr36
	s_and_saveexec_b64 s[30:31], vcc
	s_xor_b64 s[30:31], exec, s[30:31]
; %bb.10:
	v_add_u32_e32 v60, 42, v1
	v_add_u32_e32 v42, 0x54, v1
	;; [unrolled: 1-line block ×3, first 2 shown]
                                        ; implicit-def: $vgpr37
; %bb.11:
	s_or_saveexec_b64 s[30:31], s[30:31]
                                        ; implicit-def: $vgpr2_vgpr3
                                        ; implicit-def: $vgpr10_vgpr11
                                        ; implicit-def: $vgpr18_vgpr19
                                        ; implicit-def: $vgpr26_vgpr27
                                        ; implicit-def: $vgpr30_vgpr31
                                        ; implicit-def: $vgpr22_vgpr23
                                        ; implicit-def: $vgpr14_vgpr15
                                        ; implicit-def: $vgpr6_vgpr7
	s_xor_b64 exec, exec, s[30:31]
	s_cbranch_execz .LBB0_13
; %bb.12:
	v_mad_u64_u32 v[2:3], s[34:35], s26, v34, 0
	v_mov_b32_e32 v4, v3
	v_mad_u64_u32 v[4:5], s[26:27], s27, v34, v[4:5]
	v_mov_b32_e32 v3, v4
	v_mad_u64_u32 v[4:5], s[26:27], s24, v1, 0
	s_lshl_b64 s[2:3], s[2:3], 4
	s_waitcnt vmcnt(6)
	v_mov_b32_e32 v6, v5
	s_add_u32 s2, s28, s2
	v_mad_u64_u32 v[6:7], s[26:27], s25, v1, v[6:7]
	s_addc_u32 s3, s29, s3
	v_mov_b32_e32 v5, v6
	s_waitcnt vmcnt(0)
	v_lshl_add_u64 v[26:27], v[2:3], 4, s[2:3]
	v_mad_u64_u32 v[2:3], s[2:3], s24, v37, 0
	v_lshl_add_u64 v[10:11], v[4:5], 4, v[26:27]
	v_mov_b32_e32 v4, v3
	v_mad_u64_u32 v[4:5], s[2:3], s25, v37, v[4:5]
	v_mov_b32_e32 v3, v4
	v_add_u32_e32 v42, 0x54, v1
	v_lshl_add_u64 v[12:13], v[2:3], 4, v[26:27]
	global_load_dwordx4 v[2:5], v[10:11], off
	global_load_dwordx4 v[6:9], v[12:13], off
	v_mad_u64_u32 v[10:11], s[2:3], s24, v42, 0
	v_mov_b32_e32 v12, v11
	v_mad_u64_u32 v[12:13], s[2:3], s25, v42, v[12:13]
	v_mov_b32_e32 v11, v12
	v_add_u32_e32 v36, 0x7e, v1
	v_lshl_add_u64 v[18:19], v[10:11], 4, v[26:27]
	v_mad_u64_u32 v[10:11], s[2:3], s24, v36, 0
	v_mov_b32_e32 v12, v11
	v_mad_u64_u32 v[12:13], s[2:3], s25, v36, v[12:13]
	v_mov_b32_e32 v11, v12
	v_lshl_add_u64 v[20:21], v[10:11], 4, v[26:27]
	global_load_dwordx4 v[10:13], v[18:19], off
	global_load_dwordx4 v[14:17], v[20:21], off
	v_add_u32_e32 v21, 0xa8, v1
	v_mad_u64_u32 v[18:19], s[2:3], s24, v21, 0
	v_mov_b32_e32 v20, v19
	v_mad_u64_u32 v[20:21], s[2:3], s25, v21, v[20:21]
	v_mov_b32_e32 v19, v20
	v_add_u32_e32 v21, 0xd2, v1
	v_lshl_add_u64 v[28:29], v[18:19], 4, v[26:27]
	v_mad_u64_u32 v[18:19], s[2:3], s24, v21, 0
	v_mov_b32_e32 v20, v19
	v_mad_u64_u32 v[20:21], s[2:3], s25, v21, v[20:21]
	v_mov_b32_e32 v19, v20
	v_lshl_add_u64 v[30:31], v[18:19], 4, v[26:27]
	global_load_dwordx4 v[22:25], v[28:29], off
	global_load_dwordx4 v[18:21], v[30:31], off
	v_add_u32_e32 v31, 0xfc, v1
	v_mad_u64_u32 v[28:29], s[2:3], s24, v31, 0
	v_mov_b32_e32 v30, v29
	v_mad_u64_u32 v[30:31], s[2:3], s25, v31, v[30:31]
	v_mov_b32_e32 v29, v30
	v_add_u32_e32 v31, 0x126, v1
	v_lshl_add_u64 v[38:39], v[28:29], 4, v[26:27]
	v_mad_u64_u32 v[28:29], s[2:3], s24, v31, 0
	v_mov_b32_e32 v30, v29
	v_mad_u64_u32 v[30:31], s[2:3], s25, v31, v[30:31]
	v_mov_b32_e32 v29, v30
	v_lshl_add_u64 v[40:41], v[28:29], 4, v[26:27]
	global_load_dwordx4 v[30:33], v[38:39], off
	global_load_dwordx4 v[26:29], v[40:41], off
	v_mov_b32_e32 v60, v37
.LBB0_13:
	s_or_b64 exec, exec, s[30:31]
.LBB0_14:
	s_waitcnt vmcnt(3)
	v_add_f64 v[22:23], v[2:3], -v[22:23]
	v_add_f64 v[24:25], v[4:5], -v[24:25]
	s_waitcnt vmcnt(1)
	v_add_f64 v[30:31], v[10:11], -v[30:31]
	v_add_f64 v[32:33], v[12:13], -v[32:33]
	;; [unrolled: 1-line block ×4, first 2 shown]
	s_waitcnt vmcnt(0)
	v_add_f64 v[26:27], v[14:15], -v[26:27]
	v_add_f64 v[28:29], v[16:17], -v[28:29]
	v_fma_f64 v[2:3], v[2:3], 2.0, -v[22:23]
	v_fma_f64 v[4:5], v[4:5], 2.0, -v[24:25]
	;; [unrolled: 1-line block ×8, first 2 shown]
	v_add_f64 v[38:39], v[2:3], -v[10:11]
	v_add_f64 v[40:41], v[4:5], -v[12:13]
	;; [unrolled: 1-line block ×5, first 2 shown]
	v_fma_f64 v[10:11], v[2:3], 2.0, -v[38:39]
	v_fma_f64 v[12:13], v[4:5], 2.0, -v[40:41]
	v_add_f64 v[32:33], v[32:33], v[22:23]
	v_fma_f64 v[2:3], v[6:7], 2.0, -v[30:31]
	v_fma_f64 v[4:5], v[8:9], 2.0, -v[46:47]
	v_add_f64 v[48:49], v[28:29], v[18:19]
	v_add_f64 v[50:51], v[20:21], -v[26:27]
	s_mov_b32 s2, 0x667f3bcd
	v_fma_f64 v[22:23], v[22:23], 2.0, -v[32:33]
	v_fma_f64 v[24:25], v[24:25], 2.0, -v[44:45]
	;; [unrolled: 1-line block ×4, first 2 shown]
	v_add_f64 v[2:3], v[10:11], -v[2:3]
	v_add_f64 v[4:5], v[12:13], -v[4:5]
	s_mov_b32 s3, 0xbfe6a09e
	s_mov_b32 s25, 0x3fe6a09e
	;; [unrolled: 1-line block ×3, first 2 shown]
	v_mul_u32_u24_e32 v35, 48, v1
	v_fma_f64 v[6:7], v[10:11], 2.0, -v[2:3]
	v_fma_f64 v[8:9], v[12:13], 2.0, -v[4:5]
	v_fma_f64 v[10:11], s[2:3], v[14:15], v[22:23]
	v_fma_f64 v[12:13], s[2:3], v[16:17], v[24:25]
	;; [unrolled: 1-line block ×4, first 2 shown]
	v_lshlrev_b32_e32 v35, 4, v35
	v_lshlrev_b32_e32 v62, 4, v34
	v_fmac_f64_e32 v[10:11], s[24:25], v[16:17]
	v_fmac_f64_e32 v[12:13], s[2:3], v[14:15]
	v_add_f64 v[18:19], v[46:47], v[38:39]
	v_add_f64 v[20:21], v[40:41], -v[30:31]
	v_fmac_f64_e32 v[26:27], s[24:25], v[50:51]
	v_fmac_f64_e32 v[28:29], s[2:3], v[48:49]
	v_add3_u32 v34, 0, v35, v62
	v_and_b32_e32 v35, 7, v1
	v_fma_f64 v[14:15], v[22:23], 2.0, -v[10:11]
	v_fma_f64 v[16:17], v[24:25], 2.0, -v[12:13]
	;; [unrolled: 1-line block ×6, first 2 shown]
	ds_write_b128 v34, v[6:9]
	ds_write_b128 v34, v[14:17] offset:96
	ds_write_b128 v34, v[22:25] offset:192
	;; [unrolled: 1-line block ×7, first 2 shown]
	v_lshlrev_b32_e32 v2, 4, v35
	v_and_b32_e32 v37, 7, v60
	s_waitcnt lgkmcnt(0)
	s_barrier
	global_load_dwordx4 v[2:5], v2, s[18:19]
	v_lshlrev_b32_e32 v6, 4, v37
	global_load_dwordx4 v[6:9], v6, s[18:19]
	v_and_b32_e32 v43, 7, v42
	v_lshlrev_b32_e32 v10, 4, v43
	v_and_b32_e32 v52, 7, v36
	global_load_dwordx4 v[10:13], v10, s[18:19]
	v_lshlrev_b32_e32 v14, 4, v52
	global_load_dwordx4 v[14:17], v14, s[18:19]
	s_movk_i32 s2, 0xfd60
	v_mad_i32_i24 v61, v1, s2, v34
	ds_read_b128 v[18:21], v61
	ds_read_b128 v[22:25], v61 offset:16128
	v_mul_i32_i24_e32 v26, 0x60, v60
	v_add3_u32 v63, 0, v26, v62
	v_mul_i32_i24_e32 v26, 0x60, v42
	v_add3_u32 v34, 0, v26, v62
	ds_read_b128 v[26:29], v61 offset:20160
	ds_read_b128 v[30:33], v61 offset:24192
	v_mul_i32_i24_e32 v38, 0x60, v36
	v_add3_u32 v44, 0, v38, v62
	ds_read_b128 v[38:41], v34
	ds_read_b128 v[44:47], v44
	s_movk_i32 s2, 0x70
	s_movk_i32 s13, 0x60
	s_waitcnt vmcnt(3) lgkmcnt(4)
	v_mul_f64 v[48:49], v[24:25], v[4:5]
	v_mul_f64 v[4:5], v[22:23], v[4:5]
	v_fmac_f64_e32 v[48:49], v[22:23], v[2:3]
	v_fma_f64 v[22:23], v[24:25], v[2:3], -v[4:5]
	s_waitcnt vmcnt(2) lgkmcnt(3)
	v_mul_f64 v[24:25], v[28:29], v[8:9]
	v_mul_f64 v[2:3], v[26:27], v[8:9]
	v_fmac_f64_e32 v[24:25], v[26:27], v[6:7]
	v_fma_f64 v[26:27], v[28:29], v[6:7], -v[2:3]
	ds_read_b128 v[2:5], v63
	ds_read_b128 v[6:9], v61 offset:28224
	s_waitcnt vmcnt(1) lgkmcnt(4)
	v_mul_f64 v[28:29], v[32:33], v[12:13]
	v_mul_f64 v[12:13], v[30:31], v[12:13]
	v_fmac_f64_e32 v[28:29], v[30:31], v[10:11]
	v_fma_f64 v[10:11], v[32:33], v[10:11], -v[12:13]
	s_waitcnt vmcnt(0) lgkmcnt(0)
	v_mul_f64 v[12:13], v[8:9], v[16:17]
	v_fmac_f64_e32 v[12:13], v[6:7], v[14:15]
	v_mul_f64 v[6:7], v[6:7], v[16:17]
	v_fma_f64 v[50:51], v[8:9], v[14:15], -v[6:7]
	v_add_f64 v[8:9], v[20:21], -v[22:23]
	v_fma_f64 v[16:17], v[20:21], 2.0, -v[8:9]
	v_add_f64 v[20:21], v[4:5], -v[26:27]
	v_add_f64 v[26:27], v[38:39], -v[28:29]
	v_fma_f64 v[30:31], v[38:39], 2.0, -v[26:27]
	v_lshlrev_b32_e32 v38, 1, v1
	v_and_or_b32 v35, v38, s2, v35
	v_add_f64 v[6:7], v[18:19], -v[48:49]
	v_mul_u32_u24_e32 v35, 0x60, v35
	v_fma_f64 v[14:15], v[18:19], 2.0, -v[6:7]
	v_add3_u32 v35, 0, v35, v62
	s_barrier
	ds_write_b128 v35, v[14:17]
	ds_write_b128 v35, v[6:9] offset:768
	v_lshlrev_b32_e32 v6, 1, v60
	s_mov_b32 s2, 0xfff0
	v_and_or_b32 v6, v6, s2, v37
	v_add_f64 v[18:19], v[2:3], -v[24:25]
	v_mul_u32_u24_e32 v6, 0x60, v6
	v_fma_f64 v[22:23], v[2:3], 2.0, -v[18:19]
	v_fma_f64 v[24:25], v[4:5], 2.0, -v[20:21]
	v_add3_u32 v6, 0, v6, v62
	ds_write_b128 v6, v[22:25]
	ds_write_b128 v6, v[18:21] offset:768
	v_lshlrev_b32_e32 v6, 1, v42
	v_and_or_b32 v6, v6, s2, v43
	v_add_f64 v[28:29], v[40:41], -v[10:11]
	v_mul_u32_u24_e32 v6, 0x60, v6
	v_fma_f64 v[32:33], v[40:41], 2.0, -v[28:29]
	v_add3_u32 v6, 0, v6, v62
	ds_write_b128 v6, v[30:33]
	ds_write_b128 v6, v[26:29] offset:768
	v_lshlrev_b32_e32 v6, 1, v36
	v_and_or_b32 v6, v6, s2, v52
	v_add_f64 v[2:3], v[44:45], -v[12:13]
	v_add_f64 v[4:5], v[46:47], -v[50:51]
	v_mul_u32_u24_e32 v6, 0x60, v6
	v_fma_f64 v[10:11], v[44:45], 2.0, -v[2:3]
	v_fma_f64 v[12:13], v[46:47], 2.0, -v[4:5]
	v_add3_u32 v6, 0, v6, v62
	ds_write_b128 v6, v[10:13]
	ds_write_b128 v6, v[2:5] offset:768
	s_waitcnt lgkmcnt(0)
	s_barrier
	ds_read_b128 v[18:21], v61
	ds_read_b128 v[30:33], v61 offset:10752
	ds_read_b128 v[6:9], v61 offset:21504
	;; [unrolled: 1-line block ×3, first 2 shown]
	ds_read_b128 v[14:17], v63
	ds_read_b128 v[26:29], v61 offset:25536
	s_movk_i32 s2, 0xa8
	v_cmp_gt_u32_e32 vcc, s2, v0
                                        ; implicit-def: $vgpr36_vgpr37
	s_and_saveexec_b64 s[2:3], vcc
	s_cbranch_execz .LBB0_16
; %bb.15:
	ds_read_b128 v[10:13], v34
	ds_read_b128 v[2:5], v61 offset:18816
	ds_read_b128 v[34:37], v61 offset:29568
.LBB0_16:
	s_or_b64 exec, exec, s[2:3]
	v_and_b32_e32 v38, 15, v1
	v_lshlrev_b32_e32 v39, 5, v38
	v_and_b32_e32 v80, 15, v60
	global_load_dwordx4 v[44:47], v39, s[18:19] offset:128
	global_load_dwordx4 v[48:51], v39, s[18:19] offset:144
	v_lshlrev_b32_e32 v39, 5, v80
	v_and_b32_e32 v43, 15, v42
	global_load_dwordx4 v[52:55], v39, s[18:19] offset:128
	global_load_dwordx4 v[56:59], v39, s[18:19] offset:144
	v_lshlrev_b32_e32 v39, 5, v43
	global_load_dwordx4 v[64:67], v39, s[18:19] offset:128
	global_load_dwordx4 v[68:71], v39, s[18:19] offset:144
	v_lshrrev_b32_e32 v39, 4, v1
	v_mul_u32_u24_e32 v39, 48, v39
	v_or_b32_e32 v38, v39, v38
	v_mul_u32_u24_e32 v38, 0x60, v38
	v_add3_u32 v81, 0, v38, v62
	s_mov_b32 s2, 0xe8584caa
	s_mov_b32 s3, 0xbfebb67a
	s_mov_b32 s25, 0x3febb67a
	s_mov_b32 s24, s2
	s_waitcnt lgkmcnt(0)
	s_barrier
	s_waitcnt vmcnt(5)
	v_mul_f64 v[72:73], v[32:33], v[46:47]
	s_waitcnt vmcnt(4)
	v_mul_f64 v[74:75], v[8:9], v[50:51]
	v_mul_f64 v[46:47], v[30:31], v[46:47]
	;; [unrolled: 1-line block ×3, first 2 shown]
	s_waitcnt vmcnt(3)
	v_mul_f64 v[76:77], v[24:25], v[54:55]
	v_fmac_f64_e32 v[72:73], v[30:31], v[44:45]
	s_waitcnt vmcnt(1)
	v_mul_f64 v[38:39], v[4:5], v[66:67]
	v_mul_f64 v[66:67], v[2:3], v[66:67]
	v_fmac_f64_e32 v[74:75], v[6:7], v[48:49]
	v_mul_f64 v[54:55], v[22:23], v[54:55]
	v_mul_f64 v[78:79], v[28:29], v[58:59]
	;; [unrolled: 1-line block ×3, first 2 shown]
	s_waitcnt vmcnt(0)
	v_mul_f64 v[40:41], v[36:37], v[70:71]
	v_mul_f64 v[70:71], v[34:35], v[70:71]
	v_fma_f64 v[30:31], v[32:33], v[44:45], -v[46:47]
	v_fma_f64 v[6:7], v[8:9], v[48:49], -v[50:51]
	v_fmac_f64_e32 v[76:77], v[22:23], v[52:53]
	v_fma_f64 v[22:23], v[4:5], v[64:65], -v[66:67]
	v_add_f64 v[4:5], v[72:73], v[74:75]
	v_fma_f64 v[8:9], v[24:25], v[52:53], -v[54:55]
	v_fmac_f64_e32 v[78:79], v[26:27], v[56:57]
	v_fma_f64 v[32:33], v[28:29], v[56:57], -v[58:59]
	v_fmac_f64_e32 v[38:39], v[2:3], v[64:65]
	v_fmac_f64_e32 v[40:41], v[34:35], v[68:69]
	v_fma_f64 v[24:25], v[36:37], v[68:69], -v[70:71]
	v_add_f64 v[2:3], v[18:19], v[72:73]
	v_add_f64 v[36:37], v[30:31], -v[6:7]
	v_add_f64 v[28:29], v[20:21], v[30:31]
	v_add_f64 v[30:31], v[30:31], v[6:7]
	;; [unrolled: 1-line block ×3, first 2 shown]
	v_fmac_f64_e32 v[18:19], -0.5, v[4:5]
	v_add_f64 v[44:45], v[72:73], -v[74:75]
	v_add_f64 v[26:27], v[2:3], v[74:75]
	v_add_f64 v[28:29], v[28:29], v[6:7]
	v_fmac_f64_e32 v[20:21], -0.5, v[30:31]
	v_add_f64 v[30:31], v[34:35], v[78:79]
	v_fma_f64 v[34:35], s[2:3], v[36:37], v[18:19]
	v_fmac_f64_e32 v[18:19], s[24:25], v[36:37]
	v_fma_f64 v[36:37], s[24:25], v[44:45], v[20:21]
	v_fmac_f64_e32 v[20:21], s[2:3], v[44:45]
	ds_write_b128 v81, v[26:29]
	ds_write_b128 v81, v[34:37] offset:1536
	ds_write_b128 v81, v[18:21] offset:3072
	v_lshrrev_b32_e32 v18, 4, v60
	v_mul_lo_u32 v18, v18, 48
	v_add_f64 v[48:49], v[8:9], -v[32:33]
	v_add_f64 v[50:51], v[16:17], v[8:9]
	v_add_f64 v[8:9], v[8:9], v[32:33]
	;; [unrolled: 1-line block ×4, first 2 shown]
	v_or_b32_e32 v18, v18, v80
	v_add_f64 v[46:47], v[76:77], v[78:79]
	v_add_f64 v[56:57], v[22:23], -v[24:25]
	v_add_f64 v[64:65], v[38:39], -v[40:41]
	v_fmac_f64_e32 v[16:17], -0.5, v[8:9]
	v_fma_f64 v[6:7], -0.5, v[54:55], v[10:11]
	v_fma_f64 v[8:9], -0.5, v[58:59], v[12:13]
	v_mul_lo_u32 v18, v18, s13
	v_add_f64 v[52:53], v[76:77], -v[78:79]
	v_fmac_f64_e32 v[14:15], -0.5, v[46:47]
	v_add_f64 v[32:33], v[50:51], v[32:33]
	v_fma_f64 v[2:3], s[2:3], v[56:57], v[6:7]
	v_fmac_f64_e32 v[6:7], s[24:25], v[56:57]
	v_fma_f64 v[4:5], s[24:25], v[64:65], v[8:9]
	v_fmac_f64_e32 v[8:9], s[2:3], v[64:65]
	v_add3_u32 v18, 0, v18, v62
	v_fma_f64 v[44:45], s[2:3], v[48:49], v[14:15]
	v_fmac_f64_e32 v[14:15], s[24:25], v[48:49]
	v_fma_f64 v[46:47], s[24:25], v[52:53], v[16:17]
	v_fmac_f64_e32 v[16:17], s[2:3], v[52:53]
	ds_write_b128 v18, v[30:33]
	ds_write_b128 v18, v[44:47] offset:1536
	ds_write_b128 v18, v[14:17] offset:3072
	s_and_saveexec_b64 s[2:3], vcc
	s_cbranch_execz .LBB0_18
; %bb.17:
	v_lshrrev_b32_e32 v14, 4, v42
	v_mul_lo_u32 v14, v14, 48
	v_or_b32_e32 v14, v14, v43
	v_add_f64 v[12:13], v[12:13], v[22:23]
	v_add_f64 v[10:11], v[10:11], v[38:39]
	v_mul_lo_u32 v14, v14, s13
	v_add_f64 v[12:13], v[12:13], v[24:25]
	v_add_f64 v[10:11], v[10:11], v[40:41]
	v_add3_u32 v14, 0, v14, v62
	ds_write_b128 v14, v[10:13]
	ds_write_b128 v14, v[2:5] offset:1536
	ds_write_b128 v14, v[6:9] offset:3072
.LBB0_18:
	s_or_b64 exec, exec, s[2:3]
	s_waitcnt lgkmcnt(0)
	s_barrier
	ds_read_b128 v[30:33], v61
	ds_read_b128 v[54:57], v61 offset:4608
	ds_read_b128 v[50:53], v61 offset:9216
	;; [unrolled: 1-line block ×6, first 2 shown]
	v_mov_b64_e32 v[58:59], s[22:23]
	v_cmp_gt_u32_e64 s[2:3], 36, v0
                                        ; implicit-def: $vgpr28_vgpr29
                                        ; implicit-def: $vgpr24_vgpr25
                                        ; implicit-def: $vgpr20_vgpr21
                                        ; implicit-def: $vgpr16_vgpr17
                                        ; implicit-def: $vgpr12_vgpr13
	s_and_saveexec_b64 s[22:23], s[2:3]
	s_cbranch_execz .LBB0_20
; %bb.19:
	ds_read_b128 v[2:5], v63
	ds_read_b128 v[6:9], v61 offset:8640
	ds_read_b128 v[10:13], v61 offset:13248
	;; [unrolled: 1-line block ×6, first 2 shown]
.LBB0_20:
	s_or_b64 exec, exec, s[22:23]
	v_mul_lo_u16_e32 v63, 43, v1
	v_lshrrev_b16_e32 v63, 11, v63
	v_mul_lo_u16_e32 v64, 48, v63
	v_sub_u16_e32 v64, v1, v64
	v_and_b32_e32 v66, 0xff, v64
	v_mov_b64_e32 v[64:65], s[18:19]
	v_mad_u64_u32 v[88:89], s[22:23], v66, s13, v[64:65]
	global_load_dwordx4 v[64:67], v[88:89], off offset:640
	global_load_dwordx4 v[68:71], v[88:89], off offset:656
	;; [unrolled: 1-line block ×6, first 2 shown]
	v_cmp_le_u64_e32 vcc, s[20:21], v[58:59]
	s_load_dwordx2 s[0:1], s[0:1], 0x58
	s_mov_b32 s22, 0x37e14327
	s_mov_b32 s24, 0x36b3c0b5
	s_mov_b32 s26, 0xe976ee23
	s_mov_b32 s20, 0x429ad128
	s_mov_b32 s30, 0xaaaaaaaa
	s_mov_b32 s23, 0x3fe948f6
	s_mov_b32 s25, 0x3fac98ee
	s_mov_b32 s27, 0x3fe11646
	s_mov_b32 s21, 0xbfebfeb5
	s_mov_b32 s31, 0xbff2aaaa
	s_mov_b32 s28, 0x5476071b
	s_mov_b32 s40, 0xb247c609
	s_movk_i32 s15, 0x120
	s_mov_b32 s29, 0x3fe77f67
	s_mov_b32 s35, 0xbfe77f67
	;; [unrolled: 1-line block ×7, first 2 shown]
	v_mad_u32_u24 v1, v63, s15, v1
	s_mov_b32 s37, 0xbfdc38aa
	v_mul_u32_u24_e32 v1, 0x60, v1
	v_add3_u32 v1, 0, v1, v62
	s_waitcnt lgkmcnt(0)
	s_barrier
	s_waitcnt vmcnt(5)
	v_mul_f64 v[58:59], v[56:57], v[66:67]
	s_waitcnt vmcnt(4)
	v_mul_f64 v[88:89], v[52:53], v[70:71]
	v_mul_f64 v[66:67], v[54:55], v[66:67]
	;; [unrolled: 1-line block ×3, first 2 shown]
	s_waitcnt vmcnt(1)
	v_mul_f64 v[94:95], v[40:41], v[82:83]
	s_waitcnt vmcnt(0)
	v_mul_f64 v[96:97], v[36:37], v[86:87]
	v_mul_f64 v[90:91], v[48:49], v[74:75]
	;; [unrolled: 1-line block ×7, first 2 shown]
	v_fmac_f64_e32 v[58:59], v[54:55], v[64:65]
	v_fmac_f64_e32 v[88:89], v[50:51], v[68:69]
	;; [unrolled: 1-line block ×4, first 2 shown]
	v_fma_f64 v[54:55], v[56:57], v[64:65], -v[66:67]
	v_fma_f64 v[50:51], v[52:53], v[68:69], -v[70:71]
	v_fmac_f64_e32 v[90:91], v[46:47], v[72:73]
	v_fma_f64 v[46:47], v[48:49], v[72:73], -v[74:75]
	v_fmac_f64_e32 v[92:93], v[42:43], v[76:77]
	v_fma_f64 v[42:43], v[44:45], v[76:77], -v[78:79]
	v_fma_f64 v[38:39], v[40:41], v[80:81], -v[82:83]
	;; [unrolled: 1-line block ×3, first 2 shown]
	v_add_f64 v[36:37], v[58:59], v[96:97]
	v_add_f64 v[48:49], v[88:89], v[94:95]
	;; [unrolled: 1-line block ×4, first 2 shown]
	v_add_f64 v[38:39], v[50:51], -v[38:39]
	v_add_f64 v[50:51], v[90:91], v[92:93]
	v_add_f64 v[56:57], v[46:47], v[42:43]
	v_add_f64 v[42:43], v[42:43], -v[46:47]
	v_add_f64 v[46:47], v[48:49], v[36:37]
	v_add_f64 v[64:65], v[52:53], v[40:41]
	;; [unrolled: 1-line block ×3, first 2 shown]
	v_add_f64 v[44:45], v[58:59], -v[96:97]
	v_add_f64 v[34:35], v[54:55], -v[34:35]
	;; [unrolled: 1-line block ×7, first 2 shown]
	v_add_f64 v[50:51], v[56:57], v[64:65]
	v_add_f64 v[30:31], v[30:31], v[46:47]
	v_add_f64 v[68:69], v[52:53], -v[40:41]
	v_add_f64 v[40:41], v[40:41], -v[56:57]
	;; [unrolled: 1-line block ×3, first 2 shown]
	v_add_f64 v[70:71], v[58:59], v[54:55]
	v_add_f64 v[72:73], v[42:43], v[38:39]
	v_add_f64 v[74:75], v[58:59], -v[54:55]
	v_add_f64 v[76:77], v[42:43], -v[38:39]
	v_add_f64 v[54:55], v[54:55], -v[44:45]
	v_add_f64 v[38:39], v[38:39], -v[34:35]
	v_add_f64 v[32:33], v[32:33], v[50:51]
	v_mov_b64_e32 v[78:79], v[30:31]
	v_add_f64 v[58:59], v[44:45], -v[58:59]
	v_add_f64 v[42:43], v[34:35], -v[42:43]
	v_add_f64 v[44:45], v[70:71], v[44:45]
	v_add_f64 v[34:35], v[72:73], v[34:35]
	v_mul_f64 v[36:37], v[36:37], s[22:23]
	v_mul_f64 v[40:41], v[40:41], s[22:23]
	;; [unrolled: 1-line block ×8, first 2 shown]
	v_fmac_f64_e32 v[78:79], s[30:31], v[46:47]
	v_mov_b64_e32 v[46:47], v[32:33]
	v_fmac_f64_e32 v[46:47], s[30:31], v[50:51]
	v_fma_f64 v[50:51], v[66:67], s[28:29], -v[56:57]
	v_fma_f64 v[56:57], v[68:69], s[28:29], -v[64:65]
	;; [unrolled: 1-line block ×3, first 2 shown]
	v_fmac_f64_e32 v[36:37], s[24:25], v[48:49]
	v_fma_f64 v[48:49], v[68:69], s[34:35], -v[40:41]
	v_fmac_f64_e32 v[40:41], s[24:25], v[52:53]
	v_fma_f64 v[52:53], v[54:55], s[20:21], -v[70:71]
	;; [unrolled: 2-line block ×4, first 2 shown]
	v_fma_f64 v[66:67], v[42:43], s[38:39], -v[76:77]
	v_add_f64 v[68:69], v[36:37], v[78:79]
	v_add_f64 v[74:75], v[40:41], v[46:47]
	;; [unrolled: 1-line block ×6, first 2 shown]
	v_fmac_f64_e32 v[70:71], s[36:37], v[44:45]
	v_fmac_f64_e32 v[72:73], s[36:37], v[34:35]
	;; [unrolled: 1-line block ×6, first 2 shown]
	v_add_f64 v[34:35], v[72:73], v[68:69]
	v_add_f64 v[36:37], v[74:75], -v[70:71]
	v_add_f64 v[38:39], v[66:67], v[64:65]
	v_add_f64 v[40:41], v[76:77], -v[58:59]
	v_add_f64 v[42:43], v[50:51], -v[54:55]
	v_add_f64 v[44:45], v[52:53], v[56:57]
	v_add_f64 v[46:47], v[54:55], v[50:51]
	v_add_f64 v[48:49], v[56:57], -v[52:53]
	v_add_f64 v[50:51], v[64:65], -v[66:67]
	v_add_f64 v[52:53], v[58:59], v[76:77]
	v_add_f64 v[54:55], v[68:69], -v[72:73]
	v_add_f64 v[56:57], v[70:71], v[74:75]
	ds_write_b128 v1, v[30:33]
	ds_write_b128 v1, v[34:37] offset:4608
	ds_write_b128 v1, v[38:41] offset:9216
	;; [unrolled: 1-line block ×6, first 2 shown]
	s_and_saveexec_b64 s[42:43], s[2:3]
	s_cbranch_execz .LBB0_22
; %bb.21:
	s_movk_i32 s2, 0xab
	v_mul_lo_u16_sdwa v1, v60, s2 dst_sel:DWORD dst_unused:UNUSED_PAD src0_sel:BYTE_0 src1_sel:DWORD
	v_lshrrev_b16_e32 v1, 13, v1
	v_mul_lo_u16_e32 v1, 48, v1
	v_sub_u16_e32 v1, v60, v1
	v_mul_hi_u32_u24_sdwa v31, v1, s13 dst_sel:DWORD dst_unused:UNUSED_PAD src0_sel:BYTE_0 src1_sel:DWORD
	v_mul_u32_u24_sdwa v30, v1, s13 dst_sel:DWORD dst_unused:UNUSED_PAD src0_sel:BYTE_0 src1_sel:DWORD
	v_lshl_add_u64 v[54:55], s[18:19], 0, v[30:31]
	global_load_dwordx4 v[30:33], v[54:55], off offset:688
	global_load_dwordx4 v[34:37], v[54:55], off offset:672
	;; [unrolled: 1-line block ×6, first 2 shown]
	s_waitcnt vmcnt(5)
	v_mul_f64 v[54:55], v[20:21], v[32:33]
	s_waitcnt vmcnt(4)
	v_mul_f64 v[56:57], v[16:17], v[36:37]
	;; [unrolled: 2-line block ×6, first 2 shown]
	v_mul_f64 v[36:37], v[14:15], v[36:37]
	v_mul_f64 v[40:41], v[10:11], v[40:41]
	;; [unrolled: 1-line block ×6, first 2 shown]
	v_fmac_f64_e32 v[54:55], v[18:19], v[30:31]
	v_fmac_f64_e32 v[56:57], v[14:15], v[34:35]
	v_fmac_f64_e32 v[58:59], v[10:11], v[38:39]
	v_fmac_f64_e32 v[62:63], v[22:23], v[42:43]
	v_fmac_f64_e32 v[64:65], v[6:7], v[46:47]
	v_fma_f64 v[6:7], v[16:17], v[34:35], -v[36:37]
	v_fma_f64 v[12:13], v[12:13], v[38:39], -v[40:41]
	;; [unrolled: 1-line block ×5, first 2 shown]
	v_fmac_f64_e32 v[66:67], v[26:27], v[50:51]
	v_fma_f64 v[10:11], v[20:21], v[30:31], -v[32:33]
	v_add_f64 v[18:19], v[54:55], -v[56:57]
	v_add_f64 v[20:21], v[58:59], -v[62:63]
	v_add_f64 v[26:27], v[12:13], v[14:15]
	v_add_f64 v[28:29], v[8:9], v[16:17]
	v_add_f64 v[22:23], v[64:65], -v[66:67]
	v_add_f64 v[24:25], v[6:7], v[10:11]
	v_add_f64 v[30:31], v[56:57], v[54:55]
	;; [unrolled: 1-line block ×4, first 2 shown]
	v_add_f64 v[6:7], v[10:11], -v[6:7]
	v_add_f64 v[10:11], v[12:13], -v[14:15]
	;; [unrolled: 1-line block ×3, first 2 shown]
	v_add_f64 v[8:9], v[18:19], v[20:21]
	v_add_f64 v[38:39], v[26:27], v[28:29]
	v_add_f64 v[12:13], v[18:19], -v[20:21]
	v_add_f64 v[16:17], v[22:23], -v[18:19]
	;; [unrolled: 1-line block ×4, first 2 shown]
	v_add_f64 v[44:45], v[32:33], v[34:35]
	v_add_f64 v[20:21], v[20:21], -v[22:23]
	v_add_f64 v[22:23], v[8:9], v[22:23]
	v_add_f64 v[8:9], v[24:25], v[38:39]
	v_add_f64 v[18:19], v[24:25], -v[26:27]
	v_add_f64 v[40:41], v[30:31], -v[32:33]
	v_add_f64 v[46:47], v[6:7], v[10:11]
	v_add_f64 v[48:49], v[6:7], -v[10:11]
	v_add_f64 v[50:51], v[14:15], -v[6:7]
	v_add_f64 v[26:27], v[26:27], -v[28:29]
	v_add_f64 v[28:29], v[32:33], -v[34:35]
	v_mul_f64 v[32:33], v[12:13], s[26:27]
	v_mul_f64 v[6:7], v[36:37], s[22:23]
	v_mul_f64 v[36:37], v[42:43], s[22:23]
	v_add_f64 v[12:13], v[30:31], v[44:45]
	v_mul_f64 v[42:43], v[20:21], s[20:21]
	v_add_f64 v[4:5], v[4:5], v[8:9]
	v_fma_f64 v[44:45], s[40:41], v[16:17], v[32:33]
	v_add_f64 v[2:3], v[2:3], v[12:13]
	v_fma_f64 v[42:43], v[16:17], s[38:39], -v[42:43]
	v_mov_b64_e32 v[16:17], v[4:5]
	v_mul_f64 v[34:35], v[18:19], s[24:25]
	v_add_f64 v[30:31], v[46:47], v[14:15]
	v_mul_f64 v[38:39], v[48:49], s[26:27]
	v_fma_f64 v[18:19], s[24:25], v[18:19], v[6:7]
	v_mov_b64_e32 v[48:49], v[2:3]
	v_fmac_f64_e32 v[16:17], s[30:31], v[8:9]
	v_add_f64 v[14:15], v[10:11], -v[14:15]
	v_mul_f64 v[24:25], v[40:41], s[24:25]
	v_fmac_f64_e32 v[48:49], s[30:31], v[12:13]
	v_add_f64 v[52:53], v[18:19], v[16:17]
	v_fma_f64 v[18:19], v[28:29], s[34:35], -v[36:37]
	v_mul_f64 v[10:11], v[14:15], s[20:21]
	v_fma_f64 v[20:21], v[20:21], s[20:21], -v[32:33]
	v_fma_f64 v[40:41], s[24:25], v[40:41], v[36:37]
	v_fma_f64 v[46:47], s[40:41], v[50:51], v[38:39]
	v_fma_f64 v[6:7], v[26:27], s[34:35], -v[6:7]
	v_fmac_f64_e32 v[44:45], s[36:37], v[22:23]
	v_fmac_f64_e32 v[42:43], s[36:37], v[22:23]
	v_add_f64 v[36:37], v[18:19], v[48:49]
	v_fma_f64 v[50:51], v[50:51], s[38:39], -v[10:11]
	v_fma_f64 v[18:19], v[26:27], s[28:29], -v[34:35]
	v_fmac_f64_e32 v[20:21], s[36:37], v[22:23]
	v_fma_f64 v[22:23], v[14:15], s[20:21], -v[38:39]
	v_fma_f64 v[14:15], v[28:29], s[28:29], -v[24:25]
	v_fmac_f64_e32 v[46:47], s[36:37], v[30:31]
	v_add_f64 v[40:41], v[40:41], v[48:49]
	v_add_f64 v[54:55], v[6:7], v[16:17]
	v_fmac_f64_e32 v[50:51], s[36:37], v[30:31]
	v_add_f64 v[18:19], v[18:19], v[16:17]
	v_fmac_f64_e32 v[22:23], s[36:37], v[30:31]
	v_add_f64 v[24:25], v[14:15], v[48:49]
	v_add_f64 v[8:9], v[44:45], v[52:53]
	v_add_f64 v[6:7], v[40:41], -v[46:47]
	v_add_f64 v[12:13], v[42:43], v[54:55]
	v_add_f64 v[10:11], v[36:37], -v[50:51]
	v_add_f64 v[16:17], v[18:19], -v[20:21]
	v_add_f64 v[14:15], v[22:23], v[24:25]
	v_add_f64 v[20:21], v[20:21], v[18:19]
	v_add_f64 v[18:19], v[24:25], -v[22:23]
	v_add_f64 v[24:25], v[54:55], -v[42:43]
	v_add_f64 v[22:23], v[50:51], v[36:37]
	v_add_f64 v[28:29], v[52:53], -v[44:45]
	v_add_f64 v[26:27], v[46:47], v[40:41]
	ds_write_b128 v61, v[2:5] offset:4032
	ds_write_b128 v61, v[26:29] offset:8640
	;; [unrolled: 1-line block ×7, first 2 shown]
.LBB0_22:
	s_or_b64 exec, exec, s[42:43]
	s_mul_i32 s2, s6, s17
	s_mul_hi_u32 s3, s6, s16
	s_add_i32 s2, s3, s2
	s_mul_i32 s3, s7, s16
	s_mul_i32 s9, s9, s12
	s_mul_hi_u32 s13, s8, s12
	s_add_i32 s2, s2, s3
	s_mul_i32 s3, s6, s16
	s_add_i32 s13, s13, s9
	s_mul_i32 s8, s8, s12
	s_add_u32 s3, s8, s3
	s_addc_u32 s8, s13, s2
	s_mul_i32 s2, s11, s14
	s_mul_hi_u32 s9, s10, s14
	s_add_i32 s9, s9, s2
	s_mul_i32 s2, s10, s14
	s_add_u32 s2, s2, s3
	s_addc_u32 s3, s9, s8
	s_mov_b64 s[8:9], -1
	s_and_b64 vcc, exec, vcc
	s_waitcnt lgkmcnt(0)
	s_barrier
	s_cbranch_vccz .LBB0_24
; %bb.23:
	v_and_b32_e32 v1, 0xffff, v0
	v_mad_u64_u32 v[2:3], s[8:9], s4, v1, 0
	v_mov_b32_e32 v4, v3
	v_mad_u64_u32 v[4:5], s[8:9], s5, v1, v[4:5]
	s_lshl_b64 s[8:9], s[2:3], 4
	s_add_u32 s8, s0, s8
	v_mov_b32_e32 v3, v4
	s_addc_u32 s9, s1, s9
	v_lshl_add_u64 v[10:11], v[2:3], 4, s[8:9]
	v_add_u16_e32 v2, 0xfc, v0
	v_mul_u32_u24_e32 v3, 0x187, v2
	v_mul_lo_u16_e32 v1, 6, v0
	v_lshrrev_b32_e32 v12, 17, v3
	v_lshl_add_u32 v1, v1, 4, 0
	v_mul_lo_u16_e32 v3, 0x150, v12
	v_sub_u16_e32 v13, v2, v3
	ds_read_b128 v[2:5], v1
	v_mul_lo_u16_e32 v6, 6, v13
	v_or_b32_e32 v1, v6, v12
	v_and_b32_e32 v1, 0xffff, v1
	v_lshl_add_u32 v1, v1, 4, 0
	s_waitcnt lgkmcnt(0)
	global_store_dwordx4 v[10:11], v[2:5], off
	ds_read_b128 v[6:9], v1
	v_mul_lo_u32 v1, s7, v12
	v_mad_u64_u32 v[2:3], s[10:11], s4, v13, 0
	v_mov_b32_e32 v4, v3
	v_mad_u64_u32 v[4:5], s[10:11], s5, v13, v[4:5]
	v_mov_b32_e32 v3, v4
	v_mad_u64_u32 v[4:5], s[10:11], s6, v12, 0
	v_or_b32_e32 v5, v5, v1
	v_lshl_add_u64 v[2:3], v[2:3], 4, s[8:9]
	s_mov_b32 s10, 0x2f401f8
	v_lshl_add_u64 v[2:3], v[4:5], 4, v[2:3]
	v_pk_add_u16 v1, v0, s10 op_sel_hi:[0,1]
	s_waitcnt lgkmcnt(0)
	global_store_dwordx4 v[2:3], v[6:9], off
	v_and_b32_e32 v2, 0x3ff, v1
	s_movk_i32 s13, 0x619
	v_mul_u32_u24_e32 v2, 0x619, v2
	v_lshrrev_b32_e32 v8, 19, v2
	v_mul_u32_u24_sdwa v2, v1, s13 dst_sel:DWORD dst_unused:UNUSED_PAD src0_sel:WORD_1 src1_sel:DWORD
	v_lshrrev_b32_e32 v12, 19, v2
	s_mov_b32 s14, 0x5040100
	s_movk_i32 s12, 0x150
	v_perm_b32 v9, v12, v8, s14
	v_pk_mul_lo_u16 v2, v9, s12 op_sel_hi:[1,0]
	v_mad_u64_u32 v[6:7], s[10:11], s6, v8, 0
	v_pk_sub_i16 v1, v1, v2
	s_nop 0
	v_and_b32_e32 v5, 0xffff, v1
	v_mad_u64_u32 v[2:3], s[10:11], s4, v5, 0
	v_mov_b32_e32 v4, v3
	v_mad_u64_u32 v[4:5], s[10:11], s5, v5, v[4:5]
	v_mov_b32_e32 v3, v4
	v_mov_b32_e32 v4, v7
	v_mad_u64_u32 v[4:5], s[10:11], s7, v8, v[4:5]
	v_pk_mad_u16 v13, v1, 6, v9 op_sel_hi:[1,0,1]
	v_mov_b32_e32 v7, v4
	v_and_b32_e32 v4, 0xffff, v13
	v_lshl_add_u32 v4, v4, 4, 0
	v_lshl_add_u64 v[8:9], v[2:3], 4, s[8:9]
	ds_read_b128 v[2:5], v4
	v_lshl_add_u64 v[10:11], v[6:7], 4, v[8:9]
	v_bfe_u32 v6, v13, 16, 16
	v_lshl_add_u32 v6, v6, 4, 0
	ds_read_b128 v[6:9], v6
	v_lshrrev_b32_e32 v1, 16, v1
	s_waitcnt lgkmcnt(1)
	global_store_dwordx4 v[10:11], v[2:5], off
	s_nop 1
	v_mad_u64_u32 v[2:3], s[10:11], s4, v1, 0
	v_mov_b32_e32 v4, v3
	v_mad_u64_u32 v[4:5], s[10:11], s5, v1, v[4:5]
	v_mov_b32_e32 v3, v4
	;; [unrolled: 2-line block ×4, first 2 shown]
	v_lshl_add_u64 v[2:3], v[2:3], 4, s[8:9]
	s_mov_b32 s10, 0x4ec03f0
	v_lshl_add_u64 v[2:3], v[4:5], 4, v[2:3]
	v_pk_add_u16 v1, v0, s10 op_sel_hi:[0,1]
	s_waitcnt lgkmcnt(0)
	global_store_dwordx4 v[2:3], v[6:9], off
	v_and_b32_e32 v2, 0x7ff, v1
	v_mul_u32_u24_e32 v2, 0x619, v2
	v_lshrrev_b32_e32 v8, 19, v2
	v_mul_u32_u24_sdwa v2, v1, s13 dst_sel:DWORD dst_unused:UNUSED_PAD src0_sel:WORD_1 src1_sel:DWORD
	v_lshrrev_b32_e32 v12, 19, v2
	v_perm_b32 v9, v12, v8, s14
	v_pk_mul_lo_u16 v2, v9, s12 op_sel_hi:[1,0]
	v_mad_u64_u32 v[6:7], s[10:11], s6, v8, 0
	v_pk_sub_i16 v1, v1, v2
	s_nop 0
	v_and_b32_e32 v5, 0xffff, v1
	v_mad_u64_u32 v[2:3], s[10:11], s4, v5, 0
	v_mov_b32_e32 v4, v3
	v_mad_u64_u32 v[4:5], s[10:11], s5, v5, v[4:5]
	v_mov_b32_e32 v3, v4
	v_mov_b32_e32 v4, v7
	v_mad_u64_u32 v[4:5], s[10:11], s7, v8, v[4:5]
	v_pk_mad_u16 v13, v1, 6, v9 op_sel_hi:[1,0,1]
	v_mov_b32_e32 v7, v4
	v_and_b32_e32 v4, 0xffff, v13
	v_lshl_add_u32 v4, v4, 4, 0
	v_lshl_add_u64 v[8:9], v[2:3], 4, s[8:9]
	ds_read_b128 v[2:5], v4
	v_lshl_add_u64 v[10:11], v[6:7], 4, v[8:9]
	v_bfe_u32 v6, v13, 16, 16
	v_lshl_add_u32 v6, v6, 4, 0
	ds_read_b128 v[6:9], v6
	v_lshrrev_b32_e32 v1, 16, v1
	s_waitcnt lgkmcnt(1)
	global_store_dwordx4 v[10:11], v[2:5], off
	s_nop 1
	v_mad_u64_u32 v[2:3], s[10:11], s4, v1, 0
	v_mov_b32_e32 v4, v3
	v_mad_u64_u32 v[4:5], s[10:11], s5, v1, v[4:5]
	v_mov_b32_e32 v3, v4
	;; [unrolled: 2-line block ×4, first 2 shown]
	v_lshl_add_u64 v[2:3], v[2:3], 4, s[8:9]
	s_mov_b32 s10, 0x6e405e8
	v_lshl_add_u64 v[2:3], v[4:5], 4, v[2:3]
	v_pk_add_u16 v1, v0, s10 op_sel_hi:[0,1]
	s_waitcnt lgkmcnt(0)
	global_store_dwordx4 v[2:3], v[6:9], off
	v_and_b32_e32 v2, 0x7ff, v1
	v_mul_u32_u24_e32 v2, 0x619, v2
	v_lshrrev_b32_e32 v8, 19, v2
	v_mul_u32_u24_sdwa v2, v1, s13 dst_sel:DWORD dst_unused:UNUSED_PAD src0_sel:WORD_1 src1_sel:DWORD
	v_lshrrev_b32_e32 v12, 19, v2
	v_perm_b32 v9, v12, v8, s14
	v_pk_mul_lo_u16 v2, v9, s12 op_sel_hi:[1,0]
	v_mad_u64_u32 v[6:7], s[10:11], s6, v8, 0
	v_pk_sub_i16 v1, v1, v2
	s_nop 0
	v_and_b32_e32 v5, 0xffff, v1
	v_mad_u64_u32 v[2:3], s[10:11], s4, v5, 0
	v_mov_b32_e32 v4, v3
	v_mad_u64_u32 v[4:5], s[10:11], s5, v5, v[4:5]
	v_mov_b32_e32 v3, v4
	v_mov_b32_e32 v4, v7
	v_mad_u64_u32 v[4:5], s[10:11], s7, v8, v[4:5]
	v_pk_mad_u16 v13, v1, 6, v9 op_sel_hi:[1,0,1]
	v_mov_b32_e32 v7, v4
	v_and_b32_e32 v4, 0xffff, v13
	v_lshl_add_u32 v4, v4, 4, 0
	v_lshl_add_u64 v[8:9], v[2:3], 4, s[8:9]
	ds_read_b128 v[2:5], v4
	v_lshl_add_u64 v[10:11], v[6:7], 4, v[8:9]
	v_bfe_u32 v6, v13, 16, 16
	v_lshl_add_u32 v6, v6, 4, 0
	ds_read_b128 v[6:9], v6
	v_lshrrev_b32_e32 v1, 16, v1
	s_waitcnt lgkmcnt(1)
	global_store_dwordx4 v[10:11], v[2:5], off
	s_nop 1
	v_mad_u64_u32 v[2:3], s[10:11], s4, v1, 0
	v_mov_b32_e32 v4, v3
	v_mad_u64_u32 v[4:5], s[10:11], s5, v1, v[4:5]
	v_mov_b32_e32 v3, v4
	;; [unrolled: 2-line block ×4, first 2 shown]
	v_lshl_add_u64 v[2:3], v[2:3], 4, s[8:9]
	v_lshl_add_u64 v[2:3], v[4:5], 4, v[2:3]
	s_waitcnt lgkmcnt(0)
	global_store_dwordx4 v[2:3], v[6:9], off
	s_mov_b64 s[8:9], 0
.LBB0_24:
	s_andn2_b64 vcc, exec, s[8:9]
	s_cbranch_vccnz .LBB0_27
; %bb.25:
	s_lshl_b64 s[2:3], s[2:3], 4
	s_add_u32 s0, s0, s2
	s_addc_u32 s1, s1, s3
	s_mov_b64 s[2:3], 0
	s_movk_i32 s8, 0x7df
.LBB0_26:                               ; =>This Inner Loop Header: Depth=1
	v_lshrrev_b16_e32 v1, 4, v0
	v_mul_u32_u24_e32 v1, 0xc31, v1
	v_lshrrev_b32_e32 v1, 16, v1
	v_mul_lo_u16_e32 v2, 0x150, v1
	v_mad_u64_u32 v[6:7], s[10:11], s6, v1, 0
	v_sub_u16_e32 v11, v0, v2
	v_mov_b32_e32 v2, v7
	v_mad_u64_u32 v[2:3], s[10:11], s7, v1, v[2:3]
	v_mad_legacy_u16 v1, v11, 6, v1
	v_mad_u64_u32 v[8:9], s[10:11], s4, v11, 0
	v_lshl_add_u32 v1, v1, 4, 0
	v_mov_b32_e32 v10, v9
	v_mov_b32_e32 v7, v2
	ds_read_b128 v[2:5], v1
	v_mad_u64_u32 v[10:11], s[10:11], s5, v11, v[10:11]
	v_add_u32_e32 v0, 0xfc, v0
	v_mov_b32_e32 v9, v10
	v_cmp_lt_u32_e32 vcc, s8, v0
	v_lshl_add_u64 v[8:9], v[8:9], 4, s[0:1]
	s_or_b64 s[2:3], vcc, s[2:3]
	v_lshl_add_u64 v[6:7], v[6:7], 4, v[8:9]
	s_waitcnt lgkmcnt(0)
	global_store_dwordx4 v[6:7], v[2:5], off
	s_andn2_b64 exec, exec, s[2:3]
	s_cbranch_execnz .LBB0_26
.LBB0_27:
	s_endpgm
	.section	.rodata,"a",@progbits
	.p2align	6, 0x0
	.amdhsa_kernel fft_rtc_back_len336_factors_8_2_3_7_wgs_252_tpt_42_dim3_dp_op_CI_CI_sbcr_dirReg
		.amdhsa_group_segment_fixed_size 0
		.amdhsa_private_segment_fixed_size 0
		.amdhsa_kernarg_size 96
		.amdhsa_user_sgpr_count 2
		.amdhsa_user_sgpr_dispatch_ptr 0
		.amdhsa_user_sgpr_queue_ptr 0
		.amdhsa_user_sgpr_kernarg_segment_ptr 1
		.amdhsa_user_sgpr_dispatch_id 0
		.amdhsa_user_sgpr_kernarg_preload_length 0
		.amdhsa_user_sgpr_kernarg_preload_offset 0
		.amdhsa_user_sgpr_private_segment_size 0
		.amdhsa_uses_dynamic_stack 0
		.amdhsa_enable_private_segment 0
		.amdhsa_system_sgpr_workgroup_id_x 1
		.amdhsa_system_sgpr_workgroup_id_y 0
		.amdhsa_system_sgpr_workgroup_id_z 0
		.amdhsa_system_sgpr_workgroup_info 0
		.amdhsa_system_vgpr_workitem_id 0
		.amdhsa_next_free_vgpr 98
		.amdhsa_next_free_sgpr 44
		.amdhsa_accum_offset 100
		.amdhsa_reserve_vcc 1
		.amdhsa_float_round_mode_32 0
		.amdhsa_float_round_mode_16_64 0
		.amdhsa_float_denorm_mode_32 3
		.amdhsa_float_denorm_mode_16_64 3
		.amdhsa_dx10_clamp 1
		.amdhsa_ieee_mode 1
		.amdhsa_fp16_overflow 0
		.amdhsa_tg_split 0
		.amdhsa_exception_fp_ieee_invalid_op 0
		.amdhsa_exception_fp_denorm_src 0
		.amdhsa_exception_fp_ieee_div_zero 0
		.amdhsa_exception_fp_ieee_overflow 0
		.amdhsa_exception_fp_ieee_underflow 0
		.amdhsa_exception_fp_ieee_inexact 0
		.amdhsa_exception_int_div_zero 0
	.end_amdhsa_kernel
	.text
.Lfunc_end0:
	.size	fft_rtc_back_len336_factors_8_2_3_7_wgs_252_tpt_42_dim3_dp_op_CI_CI_sbcr_dirReg, .Lfunc_end0-fft_rtc_back_len336_factors_8_2_3_7_wgs_252_tpt_42_dim3_dp_op_CI_CI_sbcr_dirReg
                                        ; -- End function
	.section	.AMDGPU.csdata,"",@progbits
; Kernel info:
; codeLenInByte = 7540
; NumSgprs: 50
; NumVgprs: 98
; NumAgprs: 0
; TotalNumVgprs: 98
; ScratchSize: 0
; MemoryBound: 1
; FloatMode: 240
; IeeeMode: 1
; LDSByteSize: 0 bytes/workgroup (compile time only)
; SGPRBlocks: 6
; VGPRBlocks: 12
; NumSGPRsForWavesPerEU: 50
; NumVGPRsForWavesPerEU: 98
; AccumOffset: 100
; Occupancy: 4
; WaveLimiterHint : 1
; COMPUTE_PGM_RSRC2:SCRATCH_EN: 0
; COMPUTE_PGM_RSRC2:USER_SGPR: 2
; COMPUTE_PGM_RSRC2:TRAP_HANDLER: 0
; COMPUTE_PGM_RSRC2:TGID_X_EN: 1
; COMPUTE_PGM_RSRC2:TGID_Y_EN: 0
; COMPUTE_PGM_RSRC2:TGID_Z_EN: 0
; COMPUTE_PGM_RSRC2:TIDIG_COMP_CNT: 0
; COMPUTE_PGM_RSRC3_GFX90A:ACCUM_OFFSET: 24
; COMPUTE_PGM_RSRC3_GFX90A:TG_SPLIT: 0
	.text
	.p2alignl 6, 3212836864
	.fill 256, 4, 3212836864
	.type	__hip_cuid_1f6fb10ecf890024,@object ; @__hip_cuid_1f6fb10ecf890024
	.section	.bss,"aw",@nobits
	.globl	__hip_cuid_1f6fb10ecf890024
__hip_cuid_1f6fb10ecf890024:
	.byte	0                               ; 0x0
	.size	__hip_cuid_1f6fb10ecf890024, 1

	.ident	"AMD clang version 19.0.0git (https://github.com/RadeonOpenCompute/llvm-project roc-6.4.0 25133 c7fe45cf4b819c5991fe208aaa96edf142730f1d)"
	.section	".note.GNU-stack","",@progbits
	.addrsig
	.addrsig_sym __hip_cuid_1f6fb10ecf890024
	.amdgpu_metadata
---
amdhsa.kernels:
  - .agpr_count:     0
    .args:
      - .actual_access:  read_only
        .address_space:  global
        .offset:         0
        .size:           8
        .value_kind:     global_buffer
      - .actual_access:  read_only
        .address_space:  global
        .offset:         8
        .size:           8
        .value_kind:     global_buffer
      - .actual_access:  read_only
        .address_space:  global
        .offset:         16
        .size:           8
        .value_kind:     global_buffer
      - .actual_access:  read_only
        .address_space:  global
        .offset:         24
        .size:           8
        .value_kind:     global_buffer
      - .offset:         32
        .size:           8
        .value_kind:     by_value
      - .actual_access:  read_only
        .address_space:  global
        .offset:         40
        .size:           8
        .value_kind:     global_buffer
      - .actual_access:  read_only
        .address_space:  global
        .offset:         48
        .size:           8
        .value_kind:     global_buffer
      - .offset:         56
        .size:           4
        .value_kind:     by_value
      - .actual_access:  read_only
        .address_space:  global
        .offset:         64
        .size:           8
        .value_kind:     global_buffer
      - .actual_access:  read_only
        .address_space:  global
        .offset:         72
        .size:           8
        .value_kind:     global_buffer
      - .actual_access:  read_only
        .address_space:  global
        .offset:         80
        .size:           8
        .value_kind:     global_buffer
      - .actual_access:  write_only
        .address_space:  global
        .offset:         88
        .size:           8
        .value_kind:     global_buffer
    .group_segment_fixed_size: 0
    .kernarg_segment_align: 8
    .kernarg_segment_size: 96
    .language:       OpenCL C
    .language_version:
      - 2
      - 0
    .max_flat_workgroup_size: 252
    .name:           fft_rtc_back_len336_factors_8_2_3_7_wgs_252_tpt_42_dim3_dp_op_CI_CI_sbcr_dirReg
    .private_segment_fixed_size: 0
    .sgpr_count:     50
    .sgpr_spill_count: 0
    .symbol:         fft_rtc_back_len336_factors_8_2_3_7_wgs_252_tpt_42_dim3_dp_op_CI_CI_sbcr_dirReg.kd
    .uniform_work_group_size: 1
    .uses_dynamic_stack: false
    .vgpr_count:     98
    .vgpr_spill_count: 0
    .wavefront_size: 64
amdhsa.target:   amdgcn-amd-amdhsa--gfx950
amdhsa.version:
  - 1
  - 2
...

	.end_amdgpu_metadata
